;; amdgpu-corpus repo=ROCm/rocFFT kind=compiled arch=gfx1030 opt=O3
	.text
	.amdgcn_target "amdgcn-amd-amdhsa--gfx1030"
	.amdhsa_code_object_version 6
	.protected	fft_rtc_fwd_len220_factors_10_2_11_wgs_110_tpt_22_dp_ip_CI_sbrr_dirReg ; -- Begin function fft_rtc_fwd_len220_factors_10_2_11_wgs_110_tpt_22_dp_ip_CI_sbrr_dirReg
	.globl	fft_rtc_fwd_len220_factors_10_2_11_wgs_110_tpt_22_dp_ip_CI_sbrr_dirReg
	.p2align	8
	.type	fft_rtc_fwd_len220_factors_10_2_11_wgs_110_tpt_22_dp_ip_CI_sbrr_dirReg,@function
fft_rtc_fwd_len220_factors_10_2_11_wgs_110_tpt_22_dp_ip_CI_sbrr_dirReg: ; @fft_rtc_fwd_len220_factors_10_2_11_wgs_110_tpt_22_dp_ip_CI_sbrr_dirReg
; %bb.0:
	s_clause 0x1
	s_load_dwordx2 s[14:15], s[4:5], 0x18
	s_load_dwordx4 s[8:11], s[4:5], 0x0
	v_mul_u32_u24_e32 v1, 0xba3, v0
	s_mov_b64 s[38:39], s[2:3]
	s_mov_b64 s[36:37], s[0:1]
	v_mov_b32_e32 v3, 0
	s_add_u32 s36, s36, s7
	v_lshrrev_b32_e32 v1, 16, v1
	s_addc_u32 s37, s37, 0
	s_load_dwordx2 s[12:13], s[4:5], 0x50
	s_waitcnt lgkmcnt(0)
	s_load_dwordx2 s[2:3], s[14:15], 0x0
	v_mad_u64_u32 v[40:41], null, s6, 5, v[1:2]
	v_mov_b32_e32 v41, v3
	v_cmp_lt_u64_e64 s0, s[10:11], 2
	v_mov_b32_e32 v1, 0
	v_mov_b32_e32 v2, 0
	;; [unrolled: 1-line block ×4, first 2 shown]
	s_and_b32 vcc_lo, exec_lo, s0
	s_cbranch_vccnz .LBB0_8
; %bb.1:
	s_load_dwordx2 s[0:1], s[4:5], 0x10
	v_mov_b32_e32 v1, 0
	v_mov_b32_e32 v5, v40
	s_add_u32 s6, s14, 8
	v_mov_b32_e32 v2, 0
	v_mov_b32_e32 v6, v41
	s_addc_u32 s7, s15, 0
	s_mov_b64 s[18:19], 1
	s_waitcnt lgkmcnt(0)
	s_add_u32 s16, s0, 8
	s_addc_u32 s17, s1, 0
.LBB0_2:                                ; =>This Inner Loop Header: Depth=1
	s_load_dwordx2 s[20:21], s[16:17], 0x0
                                        ; implicit-def: $vgpr7_vgpr8
	s_mov_b32 s0, exec_lo
	s_waitcnt lgkmcnt(0)
	v_or_b32_e32 v4, s21, v6
	v_cmpx_ne_u64_e32 0, v[3:4]
	s_xor_b32 s1, exec_lo, s0
	s_cbranch_execz .LBB0_4
; %bb.3:                                ;   in Loop: Header=BB0_2 Depth=1
	v_cvt_f32_u32_e32 v4, s20
	v_cvt_f32_u32_e32 v7, s21
	s_sub_u32 s0, 0, s20
	s_subb_u32 s22, 0, s21
	v_fmac_f32_e32 v4, 0x4f800000, v7
	v_rcp_f32_e32 v4, v4
	v_mul_f32_e32 v4, 0x5f7ffffc, v4
	v_mul_f32_e32 v7, 0x2f800000, v4
	v_trunc_f32_e32 v7, v7
	v_fmac_f32_e32 v4, 0xcf800000, v7
	v_cvt_u32_f32_e32 v7, v7
	v_cvt_u32_f32_e32 v4, v4
	v_mul_lo_u32 v8, s0, v7
	v_mul_hi_u32 v9, s0, v4
	v_mul_lo_u32 v10, s22, v4
	v_add_nc_u32_e32 v8, v9, v8
	v_mul_lo_u32 v9, s0, v4
	v_add_nc_u32_e32 v8, v8, v10
	v_mul_hi_u32 v10, v4, v9
	v_mul_lo_u32 v11, v4, v8
	v_mul_hi_u32 v12, v4, v8
	v_mul_hi_u32 v13, v7, v9
	v_mul_lo_u32 v9, v7, v9
	v_mul_hi_u32 v14, v7, v8
	v_mul_lo_u32 v8, v7, v8
	v_add_co_u32 v10, vcc_lo, v10, v11
	v_add_co_ci_u32_e32 v11, vcc_lo, 0, v12, vcc_lo
	v_add_co_u32 v9, vcc_lo, v10, v9
	v_add_co_ci_u32_e32 v9, vcc_lo, v11, v13, vcc_lo
	v_add_co_ci_u32_e32 v10, vcc_lo, 0, v14, vcc_lo
	v_add_co_u32 v8, vcc_lo, v9, v8
	v_add_co_ci_u32_e32 v9, vcc_lo, 0, v10, vcc_lo
	v_add_co_u32 v4, vcc_lo, v4, v8
	v_add_co_ci_u32_e32 v7, vcc_lo, v7, v9, vcc_lo
	v_mul_hi_u32 v8, s0, v4
	v_mul_lo_u32 v10, s22, v4
	v_mul_lo_u32 v9, s0, v7
	v_add_nc_u32_e32 v8, v8, v9
	v_mul_lo_u32 v9, s0, v4
	v_add_nc_u32_e32 v8, v8, v10
	v_mul_hi_u32 v10, v4, v9
	v_mul_lo_u32 v11, v4, v8
	v_mul_hi_u32 v12, v4, v8
	v_mul_hi_u32 v13, v7, v9
	v_mul_lo_u32 v9, v7, v9
	v_mul_hi_u32 v14, v7, v8
	v_mul_lo_u32 v8, v7, v8
	v_add_co_u32 v10, vcc_lo, v10, v11
	v_add_co_ci_u32_e32 v11, vcc_lo, 0, v12, vcc_lo
	v_add_co_u32 v9, vcc_lo, v10, v9
	v_add_co_ci_u32_e32 v9, vcc_lo, v11, v13, vcc_lo
	v_add_co_ci_u32_e32 v10, vcc_lo, 0, v14, vcc_lo
	v_add_co_u32 v8, vcc_lo, v9, v8
	v_add_co_ci_u32_e32 v9, vcc_lo, 0, v10, vcc_lo
	v_add_co_u32 v4, vcc_lo, v4, v8
	v_add_co_ci_u32_e32 v11, vcc_lo, v7, v9, vcc_lo
	v_mul_hi_u32 v13, v5, v4
	v_mad_u64_u32 v[9:10], null, v6, v4, 0
	v_mad_u64_u32 v[7:8], null, v5, v11, 0
	;; [unrolled: 1-line block ×3, first 2 shown]
	v_add_co_u32 v4, vcc_lo, v13, v7
	v_add_co_ci_u32_e32 v7, vcc_lo, 0, v8, vcc_lo
	v_add_co_u32 v4, vcc_lo, v4, v9
	v_add_co_ci_u32_e32 v4, vcc_lo, v7, v10, vcc_lo
	v_add_co_ci_u32_e32 v7, vcc_lo, 0, v12, vcc_lo
	v_add_co_u32 v4, vcc_lo, v4, v11
	v_add_co_ci_u32_e32 v9, vcc_lo, 0, v7, vcc_lo
	v_mul_lo_u32 v10, s21, v4
	v_mad_u64_u32 v[7:8], null, s20, v4, 0
	v_mul_lo_u32 v11, s20, v9
	v_sub_co_u32 v7, vcc_lo, v5, v7
	v_add3_u32 v8, v8, v11, v10
	v_sub_nc_u32_e32 v10, v6, v8
	v_subrev_co_ci_u32_e64 v10, s0, s21, v10, vcc_lo
	v_add_co_u32 v11, s0, v4, 2
	v_add_co_ci_u32_e64 v12, s0, 0, v9, s0
	v_sub_co_u32 v13, s0, v7, s20
	v_sub_co_ci_u32_e32 v8, vcc_lo, v6, v8, vcc_lo
	v_subrev_co_ci_u32_e64 v10, s0, 0, v10, s0
	v_cmp_le_u32_e32 vcc_lo, s20, v13
	v_cmp_eq_u32_e64 s0, s21, v8
	v_cndmask_b32_e64 v13, 0, -1, vcc_lo
	v_cmp_le_u32_e32 vcc_lo, s21, v10
	v_cndmask_b32_e64 v14, 0, -1, vcc_lo
	v_cmp_le_u32_e32 vcc_lo, s20, v7
	;; [unrolled: 2-line block ×3, first 2 shown]
	v_cndmask_b32_e64 v15, 0, -1, vcc_lo
	v_cmp_eq_u32_e32 vcc_lo, s21, v10
	v_cndmask_b32_e64 v7, v15, v7, s0
	v_cndmask_b32_e32 v10, v14, v13, vcc_lo
	v_add_co_u32 v13, vcc_lo, v4, 1
	v_add_co_ci_u32_e32 v14, vcc_lo, 0, v9, vcc_lo
	v_cmp_ne_u32_e32 vcc_lo, 0, v10
	v_cndmask_b32_e32 v8, v14, v12, vcc_lo
	v_cndmask_b32_e32 v10, v13, v11, vcc_lo
	v_cmp_ne_u32_e32 vcc_lo, 0, v7
	v_cndmask_b32_e32 v8, v9, v8, vcc_lo
	v_cndmask_b32_e32 v7, v4, v10, vcc_lo
.LBB0_4:                                ;   in Loop: Header=BB0_2 Depth=1
	s_andn2_saveexec_b32 s0, s1
	s_cbranch_execz .LBB0_6
; %bb.5:                                ;   in Loop: Header=BB0_2 Depth=1
	v_cvt_f32_u32_e32 v4, s20
	s_sub_i32 s1, 0, s20
	v_rcp_iflag_f32_e32 v4, v4
	v_mul_f32_e32 v4, 0x4f7ffffe, v4
	v_cvt_u32_f32_e32 v4, v4
	v_mul_lo_u32 v7, s1, v4
	v_mul_hi_u32 v7, v4, v7
	v_add_nc_u32_e32 v4, v4, v7
	v_mul_hi_u32 v4, v5, v4
	v_mul_lo_u32 v7, v4, s20
	v_add_nc_u32_e32 v8, 1, v4
	v_sub_nc_u32_e32 v7, v5, v7
	v_subrev_nc_u32_e32 v9, s20, v7
	v_cmp_le_u32_e32 vcc_lo, s20, v7
	v_cndmask_b32_e32 v7, v7, v9, vcc_lo
	v_cndmask_b32_e32 v4, v4, v8, vcc_lo
	v_cmp_le_u32_e32 vcc_lo, s20, v7
	v_add_nc_u32_e32 v8, 1, v4
	v_cndmask_b32_e32 v7, v4, v8, vcc_lo
	v_mov_b32_e32 v8, v3
.LBB0_6:                                ;   in Loop: Header=BB0_2 Depth=1
	s_or_b32 exec_lo, exec_lo, s0
	s_load_dwordx2 s[0:1], s[6:7], 0x0
	v_mul_lo_u32 v4, v8, s20
	v_mul_lo_u32 v11, v7, s21
	v_mad_u64_u32 v[9:10], null, v7, s20, 0
	s_add_u32 s18, s18, 1
	s_addc_u32 s19, s19, 0
	s_add_u32 s6, s6, 8
	s_addc_u32 s7, s7, 0
	;; [unrolled: 2-line block ×3, first 2 shown]
	v_add3_u32 v4, v10, v11, v4
	v_sub_co_u32 v5, vcc_lo, v5, v9
	v_sub_co_ci_u32_e32 v4, vcc_lo, v6, v4, vcc_lo
	s_waitcnt lgkmcnt(0)
	v_mul_lo_u32 v6, s1, v5
	v_mul_lo_u32 v4, s0, v4
	v_mad_u64_u32 v[1:2], null, s0, v5, v[1:2]
	v_cmp_ge_u64_e64 s0, s[18:19], s[10:11]
	s_and_b32 vcc_lo, exec_lo, s0
	v_add3_u32 v2, v6, v2, v4
	s_cbranch_vccnz .LBB0_8
; %bb.7:                                ;   in Loop: Header=BB0_2 Depth=1
	v_mov_b32_e32 v5, v7
	v_mov_b32_e32 v6, v8
	s_branch .LBB0_2
.LBB0_8:
	s_lshl_b64 s[0:1], s[10:11], 3
	v_mul_hi_u32 v3, 0xba2e8bb, v0
	s_add_u32 s0, s14, s0
	s_addc_u32 s1, s15, s1
	s_load_dwordx2 s[4:5], s[4:5], 0x20
	s_load_dwordx2 s[0:1], s[0:1], 0x0
	v_mul_u32_u24_e32 v3, 22, v3
	v_sub_nc_u32_e32 v90, v0, v3
	v_add_nc_u32_e32 v41, 22, v90
	v_add_nc_u32_e32 v42, 44, v90
	;; [unrolled: 1-line block ×4, first 2 shown]
	s_waitcnt lgkmcnt(0)
	v_cmp_gt_u64_e32 vcc_lo, s[4:5], v[7:8]
	v_mul_lo_u32 v3, s0, v8
	v_mul_lo_u32 v4, s1, v7
	v_mad_u64_u32 v[0:1], null, s0, v7, v[1:2]
	v_cmp_le_u64_e64 s0, s[4:5], v[7:8]
	v_add3_u32 v1, v4, v1, v3
	s_and_saveexec_b32 s1, s0
	s_xor_b32 s0, exec_lo, s1
; %bb.9:
	v_add_nc_u32_e32 v41, 22, v90
	v_add_nc_u32_e32 v42, 44, v90
	;; [unrolled: 1-line block ×4, first 2 shown]
; %bb.10:
	s_or_saveexec_b32 s1, s0
	v_lshlrev_b64 v[84:85], 4, v[0:1]
                                        ; implicit-def: $vgpr10_vgpr11
                                        ; implicit-def: $vgpr6_vgpr7
                                        ; implicit-def: $vgpr14_vgpr15
                                        ; implicit-def: $vgpr18_vgpr19
                                        ; implicit-def: $vgpr26_vgpr27
                                        ; implicit-def: $vgpr30_vgpr31
                                        ; implicit-def: $vgpr34_vgpr35
                                        ; implicit-def: $vgpr38_vgpr39
                                        ; implicit-def: $vgpr22_vgpr23
                                        ; implicit-def: $vgpr2_vgpr3
	s_xor_b32 exec_lo, exec_lo, s1
	s_cbranch_execz .LBB0_12
; %bb.11:
	v_mad_u64_u32 v[0:1], null, s2, v90, 0
	v_mad_u64_u32 v[2:3], null, s2, v41, 0
	;; [unrolled: 1-line block ×4, first 2 shown]
	v_add_co_u32 v26, s0, s12, v84
	v_mad_u64_u32 v[8:9], null, s3, v90, v[1:2]
	v_mov_b32_e32 v1, v5
	v_mad_u64_u32 v[9:10], null, s3, v41, v[3:4]
	v_mov_b32_e32 v5, v7
	v_add_co_ci_u32_e64 v27, s0, s13, v85, s0
	v_mad_u64_u32 v[10:11], null, s3, v42, v[1:2]
	v_mov_b32_e32 v1, v8
	v_mov_b32_e32 v3, v9
	v_mad_u64_u32 v[7:8], null, s3, v43, v[5:6]
	v_add_nc_u32_e32 v16, 0x6e, v90
	v_lshlrev_b64 v[0:1], 4, v[0:1]
	v_lshlrev_b64 v[2:3], 4, v[2:3]
	v_mov_b32_e32 v5, v10
	v_mad_u64_u32 v[10:11], null, s2, v44, 0
	v_mad_u64_u32 v[12:13], null, s2, v16, 0
	v_add_co_u32 v0, s0, v26, v0
	v_add_co_ci_u32_e64 v1, s0, v27, v1, s0
	v_add_co_u32 v8, s0, v26, v2
	v_add_co_ci_u32_e64 v9, s0, v27, v3, s0
	s_clause 0x1
	global_load_dwordx4 v[0:3], v[0:1], off
	global_load_dwordx4 v[20:23], v[8:9], off
	v_mov_b32_e32 v8, v11
	v_lshlrev_b64 v[4:5], 4, v[4:5]
	v_lshlrev_b64 v[6:7], 4, v[6:7]
	v_add_nc_u32_e32 v18, 0x84, v90
	v_add_nc_u32_e32 v19, 0x9a, v90
	v_mad_u64_u32 v[8:9], null, s3, v44, v[8:9]
	v_add_co_u32 v4, s0, v26, v4
	v_mov_b32_e32 v9, v13
	v_add_co_ci_u32_e64 v5, s0, v27, v5, s0
	v_mad_u64_u32 v[14:15], null, s2, v18, 0
	v_add_co_u32 v6, s0, v26, v6
	v_mov_b32_e32 v11, v8
	v_add_co_ci_u32_e64 v7, s0, v27, v7, s0
	v_mad_u64_u32 v[16:17], null, s3, v16, v[9:10]
	v_mad_u64_u32 v[8:9], null, s2, v19, 0
	s_clause 0x1
	global_load_dwordx4 v[36:39], v[4:5], off
	global_load_dwordx4 v[32:35], v[6:7], off
	v_lshlrev_b64 v[5:6], 4, v[10:11]
	v_add_nc_u32_e32 v7, 0xb0, v90
	v_mov_b32_e32 v4, v15
	v_mov_b32_e32 v13, v16
	v_add_nc_u32_e32 v28, 0xc6, v90
	v_mad_u64_u32 v[16:17], null, s2, v7, 0
	v_mad_u64_u32 v[10:11], null, s3, v18, v[4:5]
	v_mov_b32_e32 v4, v9
	v_mad_u64_u32 v[24:25], null, s2, v28, 0
	v_lshlrev_b64 v[11:12], 4, v[12:13]
	v_mad_u64_u32 v[18:19], null, s3, v19, v[4:5]
	v_add_co_u32 v4, s0, v26, v5
	v_add_co_ci_u32_e64 v5, s0, v27, v6, s0
	v_mov_b32_e32 v6, v17
	v_mov_b32_e32 v15, v10
	v_add_co_u32 v10, s0, v26, v11
	v_mov_b32_e32 v9, v18
	v_mad_u64_u32 v[6:7], null, s3, v7, v[6:7]
	v_mov_b32_e32 v7, v25
	v_add_co_ci_u32_e64 v11, s0, v27, v12, s0
	v_lshlrev_b64 v[12:13], 4, v[14:15]
	v_mad_u64_u32 v[14:15], null, s3, v28, v[7:8]
	v_lshlrev_b64 v[7:8], 4, v[8:9]
	v_mov_b32_e32 v17, v6
	v_add_co_u32 v12, s0, v26, v12
	v_add_co_ci_u32_e64 v13, s0, v27, v13, s0
	v_mov_b32_e32 v25, v14
	v_lshlrev_b64 v[15:16], 4, v[16:17]
	v_add_co_u32 v6, s0, v26, v7
	v_add_co_ci_u32_e64 v7, s0, v27, v8, s0
	v_lshlrev_b64 v[8:9], 4, v[24:25]
	v_add_co_u32 v45, s0, v26, v15
	v_add_co_ci_u32_e64 v46, s0, v27, v16, s0
	v_add_co_u32 v8, s0, v26, v8
	v_add_co_ci_u32_e64 v9, s0, v27, v9, s0
	s_clause 0x5
	global_load_dwordx4 v[28:31], v[4:5], off
	global_load_dwordx4 v[24:27], v[10:11], off
	;; [unrolled: 1-line block ×6, first 2 shown]
.LBB0_12:
	s_or_b32 exec_lo, exec_lo, s1
	s_waitcnt vmcnt(2)
	v_add_f64 v[47:48], v[12:13], v[24:25]
	s_waitcnt vmcnt(0)
	v_add_f64 v[45:46], v[8:9], v[32:33]
	v_add_f64 v[63:64], v[10:11], v[34:35]
	v_add_f64 v[65:66], v[14:15], v[26:27]
	v_add_f64 v[81:82], v[34:35], -v[10:11]
	v_add_f64 v[86:87], v[26:27], -v[14:15]
	;; [unrolled: 1-line block ×3, first 2 shown]
	v_add_f64 v[93:94], v[34:35], v[22:23]
	v_add_f64 v[97:98], v[32:33], -v[8:9]
	s_mov_b32 s4, 0x134454ff
	s_mov_b32 s5, 0x3fee6f0e
	;; [unrolled: 1-line block ×4, first 2 shown]
	v_add_f64 v[49:50], v[16:17], v[28:29]
	v_add_f64 v[51:52], v[4:5], v[36:37]
	v_add_f64 v[53:54], v[18:19], v[30:31]
	v_add_f64 v[95:96], v[32:33], -v[24:25]
	v_add_f64 v[101:102], v[8:9], -v[12:13]
	v_add_f64 v[55:56], v[6:7], v[38:39]
	v_add_f64 v[103:104], v[12:13], -v[8:9]
	v_add_f64 v[57:58], v[36:37], v[0:1]
	v_add_f64 v[107:108], v[14:15], -v[10:11]
	v_fma_f64 v[47:48], v[47:48], -0.5, v[20:21]
	v_fma_f64 v[45:46], v[45:46], -0.5, v[20:21]
	;; [unrolled: 1-line block ×4, first 2 shown]
	v_add_f64 v[20:21], v[32:33], v[20:21]
	v_add_f64 v[32:33], v[24:25], -v[32:33]
	v_add_f64 v[65:66], v[34:35], -v[26:27]
	v_add_f64 v[34:35], v[26:27], -v[34:35]
	v_add_f64 v[59:60], v[38:39], v[2:3]
	v_add_f64 v[105:106], v[10:11], -v[14:15]
	s_mov_b32 s10, 0x4755a5e
	s_mov_b32 s11, 0x3fe2cf23
	;; [unrolled: 1-line block ×4, first 2 shown]
	v_add_f64 v[61:62], v[38:39], -v[6:7]
	v_add_f64 v[67:68], v[36:37], -v[28:29]
	;; [unrolled: 1-line block ×6, first 2 shown]
	v_fma_f64 v[49:50], v[49:50], -0.5, v[0:1]
	v_fma_f64 v[0:1], v[51:52], -0.5, v[0:1]
	v_fma_f64 v[111:112], v[81:82], s[4:5], v[47:48]
	v_fma_f64 v[109:110], v[86:87], s[4:5], v[45:46]
	;; [unrolled: 1-line block ×6, first 2 shown]
	v_fma_f64 v[51:52], v[53:54], -0.5, v[2:3]
	v_add_f64 v[53:54], v[101:102], v[95:96]
	v_fma_f64 v[22:23], v[97:98], s[0:1], v[22:23]
	v_add_f64 v[71:72], v[38:39], -v[30:31]
	v_add_f64 v[75:76], v[28:29], -v[16:17]
	;; [unrolled: 1-line block ×4, first 2 shown]
	v_add_f64 v[32:33], v[103:104], v[32:33]
	v_fma_f64 v[63:64], v[99:100], s[4:5], v[63:64]
	v_fma_f64 v[2:3], v[55:56], -0.5, v[2:3]
	v_add_f64 v[28:29], v[28:29], v[57:58]
	v_add_f64 v[34:35], v[107:108], v[34:35]
	v_add_f64 v[38:39], v[30:31], -v[38:39]
	v_add_f64 v[30:31], v[30:31], v[59:60]
	v_add_f64 v[55:56], v[105:106], v[65:66]
	s_mov_b32 s14, 0x372fe950
	v_fma_f64 v[101:102], v[86:87], s[10:11], v[111:112]
	v_fma_f64 v[95:96], v[81:82], s[6:7], v[109:110]
	;; [unrolled: 1-line block ×6, first 2 shown]
	s_mov_b32 s15, 0x3fd3c6ef
	v_add_f64 v[20:21], v[24:25], v[20:21]
	v_add_f64 v[24:25], v[26:27], v[93:94]
	;; [unrolled: 1-line block ×3, first 2 shown]
	v_fma_f64 v[65:66], v[61:62], s[4:5], v[49:50]
	v_fma_f64 v[49:50], v[61:62], s[0:1], v[49:50]
	;; [unrolled: 1-line block ×6, first 2 shown]
	v_add_f64 v[91:92], v[18:19], -v[6:7]
	v_fma_f64 v[51:52], v[36:37], s[4:5], v[51:52]
	v_fma_f64 v[63:64], v[97:98], s[6:7], v[63:64]
	v_add_f64 v[16:17], v[16:17], v[28:29]
	s_mov_b32 s16, 0x9b97f4a8
	s_mov_b32 s17, 0x3fe9e377
	v_fma_f64 v[86:87], v[53:54], s[14:15], v[101:102]
	v_fma_f64 v[81:82], v[32:33], s[14:15], v[95:96]
	;; [unrolled: 1-line block ×3, first 2 shown]
	v_add_f64 v[45:46], v[79:80], v[69:70]
	v_add_f64 v[69:70], v[88:89], v[71:72]
	v_fma_f64 v[71:72], v[75:76], s[4:5], v[2:3]
	v_fma_f64 v[2:3], v[75:76], s[0:1], v[2:3]
	v_fma_f64 v[47:48], v[53:54], s[14:15], v[47:48]
	v_fma_f64 v[28:29], v[34:35], s[14:15], v[57:58]
	v_fma_f64 v[53:54], v[55:56], s[14:15], v[59:60]
	v_add_f64 v[18:19], v[18:19], v[30:31]
	v_add_f64 v[12:13], v[12:13], v[20:21]
	;; [unrolled: 1-line block ×3, first 2 shown]
	v_fma_f64 v[20:21], v[73:74], s[10:11], v[65:66]
	v_fma_f64 v[24:25], v[73:74], s[6:7], v[49:50]
	;; [unrolled: 1-line block ×8, first 2 shown]
	v_add_f64 v[38:39], v[91:92], v[38:39]
	v_mul_f64 v[57:58], v[86:87], s[16:17]
	v_mul_f64 v[61:62], v[86:87], s[6:7]
	;; [unrolled: 1-line block ×5, first 2 shown]
	v_fma_f64 v[63:64], v[36:37], s[6:7], v[71:72]
	v_fma_f64 v[2:3], v[36:37], s[10:11], v[2:3]
	v_mul_f64 v[36:37], v[47:48], s[16:17]
	v_mul_f64 v[65:66], v[28:29], s[14:15]
	;; [unrolled: 1-line block ×3, first 2 shown]
	v_mul_hi_u32 v83, 0xcccccccd, v40
	v_add_f64 v[4:5], v[4:5], v[16:17]
	v_add_f64 v[6:7], v[6:7], v[18:19]
	;; [unrolled: 1-line block ×4, first 2 shown]
	v_fma_f64 v[14:15], v[26:27], s[14:15], v[20:21]
	v_fma_f64 v[30:31], v[45:46], s[14:15], v[30:31]
	;; [unrolled: 1-line block ×6, first 2 shown]
	v_lshrrev_b32_e32 v73, 2, v83
	v_fma_f64 v[20:21], v[22:23], s[10:11], v[57:58]
	v_fma_f64 v[22:23], v[22:23], s[16:17], v[61:62]
	v_fma_f64 v[51:52], v[28:29], s[4:5], -v[55:56]
	v_fma_f64 v[28:29], v[34:35], s[4:5], v[59:60]
	v_fma_f64 v[34:35], v[34:35], s[14:15], v[32:33]
	;; [unrolled: 1-line block ×4, first 2 shown]
	v_fma_f64 v[36:37], v[53:54], s[10:11], -v[36:37]
	v_fma_f64 v[53:54], v[81:82], s[0:1], -v[65:66]
	;; [unrolled: 1-line block ×3, first 2 shown]
	v_lshl_add_u32 v0, v73, 2, v73
	v_cmp_gt_u32_e64 s0, 20, v90
	v_add_f64 v[2:3], v[10:11], v[6:7]
	v_sub_nc_u32_e32 v0, v40, v0
	v_add_f64 v[6:7], v[6:7], -v[10:11]
	v_mul_u32_u24_e32 v40, 0xdc, v0
	v_add_f64 v[0:1], v[8:9], v[4:5]
	v_add_f64 v[4:5], v[4:5], -v[8:9]
	v_add_f64 v[8:9], v[14:15], v[20:21]
	v_add_f64 v[10:11], v[18:19], v[22:23]
	;; [unrolled: 1-line block ×3, first 2 shown]
	v_add_f64 v[20:21], v[14:15], -v[20:21]
	v_add_f64 v[14:15], v[55:56], v[34:35]
	v_add_f64 v[16:17], v[45:46], v[51:52]
	v_add_f64 v[22:23], v[18:19], -v[22:23]
	v_add_f64 v[18:19], v[38:39], v[53:54]
	v_add_f64 v[24:25], v[71:72], v[36:37]
	;; [unrolled: 1-line block ×3, first 2 shown]
	v_lshlrev_b32_e32 v40, 4, v40
	v_add_f64 v[32:33], v[45:46], -v[51:52]
	v_mul_u32_u24_e32 v45, 10, v90
	v_add_f64 v[28:29], v[30:31], -v[28:29]
	v_add_f64 v[30:31], v[55:56], -v[34:35]
	v_add_nc_u32_e32 v52, 0, v40
	v_add_f64 v[34:35], v[38:39], -v[53:54]
	v_and_b32_e32 v38, 0xff, v90
	v_and_b32_e32 v46, 0xff, v41
	v_add_f64 v[36:37], v[71:72], -v[36:37]
	v_lshl_add_u32 v53, v45, 4, v52
	ds_write_b128 v53, v[0:3]
	ds_write_b128 v53, v[8:11] offset:16
	ds_write_b128 v53, v[12:15] offset:32
	;; [unrolled: 1-line block ×5, first 2 shown]
	v_mul_lo_u16 v51, 0xcd, v38
	v_mul_lo_u16 v46, 0xcd, v46
	v_and_b32_e32 v1, 0xff, v42
	v_and_b32_e32 v3, 0xff, v43
	;; [unrolled: 1-line block ×3, first 2 shown]
	v_lshrrev_b16 v66, 11, v51
	v_lshrrev_b16 v67, 11, v46
	v_mul_lo_u16 v1, 0xcd, v1
	v_mul_lo_u16 v3, 0xcd, v3
	;; [unrolled: 1-line block ×4, first 2 shown]
	v_add_f64 v[38:39], v[49:50], -v[47:48]
	v_mul_lo_u16 v2, v67, 10
	v_lshrrev_b16 v68, 11, v1
	v_mov_b32_e32 v8, 4
	v_sub_nc_u16 v0, v90, v0
	v_lshrrev_b16 v69, 11, v3
	v_lshrrev_b16 v70, 11, v4
	v_sub_nc_u16 v1, v41, v2
	v_mul_lo_u16 v2, v68, 10
	v_lshlrev_b32_sdwa v71, v8, v0 dst_sel:DWORD dst_unused:UNUSED_PAD src0_sel:DWORD src1_sel:BYTE_0
	v_mul_lo_u16 v0, v69, 10
	v_mul_lo_u16 v3, v70, 10
	v_lshlrev_b32_sdwa v72, v8, v1 dst_sel:DWORD dst_unused:UNUSED_PAD src0_sel:DWORD src1_sel:BYTE_0
	v_sub_nc_u16 v2, v42, v2
	ds_write_b128 v53, v[20:23] offset:96
	ds_write_b128 v53, v[28:31] offset:112
	;; [unrolled: 1-line block ×3, first 2 shown]
	v_sub_nc_u16 v4, v43, v0
	v_sub_nc_u16 v9, v44, v3
	v_mad_i32_i24 v46, 0xffffff70, v90, v53
	v_lshlrev_b32_sdwa v73, v8, v2 dst_sel:DWORD dst_unused:UNUSED_PAD src0_sel:DWORD src1_sel:BYTE_0
	v_lshl_add_u32 v47, v90, 4, v52
	v_lshlrev_b32_sdwa v74, v8, v4 dst_sel:DWORD dst_unused:UNUSED_PAD src0_sel:DWORD src1_sel:BYTE_0
	v_lshlrev_b32_sdwa v75, v8, v9 dst_sel:DWORD dst_unused:UNUSED_PAD src0_sel:DWORD src1_sel:BYTE_0
	ds_write_b128 v53, v[36:39] offset:144
	s_waitcnt lgkmcnt(0)
	s_barrier
	buffer_gl0_inv
	s_clause 0x4
	global_load_dwordx4 v[0:3], v71, s[8:9]
	global_load_dwordx4 v[4:7], v72, s[8:9]
	;; [unrolled: 1-line block ×5, first 2 shown]
	ds_read_b128 v[20:23], v46 offset:1760
	ds_read_b128 v[24:27], v46 offset:2112
	ds_read_b128 v[28:31], v46 offset:2464
	ds_read_b128 v[32:35], v46 offset:2816
	ds_read_b128 v[36:39], v46 offset:3168
	v_lshl_add_u32 v41, v41, 4, v52
	v_lshl_add_u32 v76, v43, 4, v52
	;; [unrolled: 1-line block ×4, first 2 shown]
	ds_read_b128 v[48:51], v47
	ds_read_b128 v[41:44], v41
	;; [unrolled: 1-line block ×3, first 2 shown]
	s_waitcnt vmcnt(4) lgkmcnt(7)
	v_mul_f64 v[56:57], v[22:23], v[2:3]
	v_mul_f64 v[2:3], v[20:21], v[2:3]
	s_waitcnt vmcnt(3) lgkmcnt(6)
	v_mul_f64 v[58:59], v[26:27], v[6:7]
	v_mul_f64 v[6:7], v[24:25], v[6:7]
	;; [unrolled: 3-line block ×5, first 2 shown]
	v_fma_f64 v[20:21], v[20:21], v[0:1], -v[56:57]
	v_fma_f64 v[0:1], v[22:23], v[0:1], v[2:3]
	v_fma_f64 v[2:3], v[24:25], v[4:5], -v[58:59]
	v_fma_f64 v[22:23], v[26:27], v[4:5], v[6:7]
	v_fma_f64 v[24:25], v[28:29], v[8:9], -v[60:61]
	v_fma_f64 v[26:27], v[30:31], v[8:9], v[10:11]
	v_fma_f64 v[28:29], v[32:33], v[12:13], -v[62:63]
	v_fma_f64 v[30:31], v[34:35], v[12:13], v[14:15]
	v_fma_f64 v[56:57], v[36:37], v[16:17], -v[64:65]
	v_fma_f64 v[58:59], v[38:39], v[16:17], v[18:19]
	ds_read_b128 v[32:35], v76
	ds_read_b128 v[36:39], v77
	v_and_b32_e32 v60, 0xffff, v70
	s_waitcnt lgkmcnt(0)
	s_barrier
	buffer_gl0_inv
	v_add_f64 v[4:5], v[48:49], -v[20:21]
	v_add_f64 v[6:7], v[50:51], -v[0:1]
	;; [unrolled: 1-line block ×10, first 2 shown]
	v_and_b32_e32 v56, 0xffff, v66
	v_and_b32_e32 v57, 0xffff, v67
	;; [unrolled: 1-line block ×4, first 2 shown]
	v_fma_f64 v[0:1], v[48:49], 2.0, -v[4:5]
	v_fma_f64 v[2:3], v[50:51], 2.0, -v[6:7]
	;; [unrolled: 1-line block ×6, first 2 shown]
	v_mad_u32_u24 v41, 0x140, v56, 0
	v_mad_u32_u24 v42, 0x140, v57, 0
	v_fma_f64 v[32:33], v[32:33], 2.0, -v[16:17]
	v_fma_f64 v[34:35], v[34:35], 2.0, -v[18:19]
	;; [unrolled: 1-line block ×4, first 2 shown]
	v_mad_u32_u24 v43, 0x140, v58, 0
	v_mad_u32_u24 v44, 0x140, v59, 0
	v_mad_u32_u24 v48, 0x140, v60, 0
	v_add3_u32 v41, v41, v71, v40
	v_add3_u32 v42, v42, v72, v40
	;; [unrolled: 1-line block ×5, first 2 shown]
	ds_write_b128 v41, v[4:7] offset:160
	ds_write_b128 v41, v[0:3]
	ds_write_b128 v42, v[24:27]
	ds_write_b128 v42, v[8:11] offset:160
	ds_write_b128 v43, v[28:31]
	ds_write_b128 v43, v[12:15] offset:160
	;; [unrolled: 2-line block ×4, first 2 shown]
	s_waitcnt lgkmcnt(0)
	s_barrier
	buffer_gl0_inv
                                        ; implicit-def: $vgpr42_vgpr43
	s_and_saveexec_b32 s1, s0
	s_cbranch_execnz .LBB0_15
; %bb.13:
	s_or_b32 exec_lo, exec_lo, s1
	s_and_b32 s0, vcc_lo, s0
	s_and_saveexec_b32 s1, s0
	s_cbranch_execnz .LBB0_16
.LBB0_14:
	s_endpgm
.LBB0_15:
	ds_read_b128 v[0:3], v47
	ds_read_b128 v[4:7], v46 offset:320
	ds_read_b128 v[24:27], v46 offset:640
	;; [unrolled: 1-line block ×10, first 2 shown]
	s_or_b32 exec_lo, exec_lo, s1
	s_and_b32 s0, vcc_lo, s0
	s_and_saveexec_b32 s1, s0
	s_cbranch_execz .LBB0_14
.LBB0_16:
	v_lshlrev_b32_e32 v76, 4, v45
	v_add_nc_u32_e32 v111, 20, v90
	v_add_nc_u32_e32 v113, 60, v90
	;; [unrolled: 1-line block ×3, first 2 shown]
	v_mad_u64_u32 v[93:94], null, s2, v90, 0
	s_clause 0x9
	global_load_dwordx4 v[44:47], v76, s[8:9] offset:160
	global_load_dwordx4 v[72:75], v76, s[8:9] offset:304
	;; [unrolled: 1-line block ×10, first 2 shown]
	v_mad_u64_u32 v[95:96], null, s2, v111, 0
	v_mad_u64_u32 v[99:100], null, s2, v113, 0
	v_add_nc_u32_e32 v114, 0x50, v90
	v_add_nc_u32_e32 v115, 0x64, v90
	v_mad_u64_u32 v[97:98], null, s2, v112, 0
	v_add_nc_u32_e32 v116, 0x78, v90
	v_mad_u64_u32 v[101:102], null, s2, v114, 0
	v_add_nc_u32_e32 v117, 0x8c, v90
	v_or_b32_e32 v118, 0xa0, v90
	v_add_nc_u32_e32 v119, 0xb4, v90
	v_add_nc_u32_e32 v120, 0xc8, v90
	v_add_co_u32 v91, vcc_lo, s12, v84
	v_mad_u64_u32 v[103:104], null, s2, v115, 0
	v_mad_u64_u32 v[109:110], null, s3, v90, v[94:95]
	v_mov_b32_e32 v90, v100
	v_mad_u64_u32 v[110:111], null, s3, v111, v[96:97]
	v_mad_u64_u32 v[111:112], null, s3, v112, v[98:99]
	;; [unrolled: 1-line block ×3, first 2 shown]
	v_mov_b32_e32 v94, v102
	v_mov_b32_e32 v100, v104
	v_mad_u64_u32 v[105:106], null, s2, v116, 0
	v_mad_u64_u32 v[107:108], null, s2, v117, 0
	;; [unrolled: 1-line block ×4, first 2 shown]
	v_mov_b32_e32 v94, v109
	v_mov_b32_e32 v96, v110
	v_mov_b32_e32 v98, v111
	v_mov_b32_e32 v100, v112
	v_mad_u64_u32 v[86:87], null, s2, v118, 0
	v_mad_u64_u32 v[88:89], null, s2, v120, 0
	v_add_co_ci_u32_e32 v92, vcc_lo, s13, v85, vcc_lo
	v_mad_u64_u32 v[84:85], null, s2, v119, 0
	v_mov_b32_e32 v102, v106
	v_mov_b32_e32 v104, v108
	v_mad_u64_u32 v[89:90], null, s3, v120, v[89:90]
	s_mov_b32 s6, 0x7f775887
	v_mad_u64_u32 v[115:116], null, s3, v116, v[102:103]
	v_mad_u64_u32 v[116:117], null, s3, v117, v[104:105]
	;; [unrolled: 1-line block ×4, first 2 shown]
	v_mov_b32_e32 v102, v113
	v_mov_b32_e32 v104, v114
	;; [unrolled: 1-line block ×5, first 2 shown]
	s_mov_b32 s7, 0xbfe4f49e
	v_mov_b32_e32 v85, v118
	v_lshlrev_b64 v[93:94], 4, v[93:94]
	s_mov_b32 s0, 0x640f44db
	s_mov_b32 s22, 0xfd768dbf
	;; [unrolled: 1-line block ×12, first 2 shown]
	v_lshlrev_b64 v[95:96], 4, v[95:96]
	v_lshlrev_b64 v[97:98], 4, v[97:98]
	v_add_co_u32 v93, vcc_lo, v91, v93
	v_add_co_ci_u32_e32 v94, vcc_lo, v92, v94, vcc_lo
	v_lshlrev_b64 v[99:100], 4, v[99:100]
	v_add_co_u32 v95, vcc_lo, v91, v95
	v_add_co_ci_u32_e32 v96, vcc_lo, v92, v96, vcc_lo
	;; [unrolled: 3-line block ×5, first 2 shown]
	s_mov_b32 s18, 0xbb3a28a1
	v_add_co_u32 v103, vcc_lo, v91, v103
	s_mov_b32 s19, 0x3fe82f19
	s_mov_b32 s16, 0x43842ef
	;; [unrolled: 1-line block ×4, first 2 shown]
	v_add_co_ci_u32_e32 v104, vcc_lo, v92, v104, vcc_lo
	s_mov_b32 s17, 0x3fefac9e
	s_mov_b32 s15, 0xbfed1bb4
	s_mov_b32 s21, 0xbfe14ced
	s_mov_b32 s29, 0xbfefac9e
	s_mov_b32 s25, 0xbfe82f19
	s_mov_b32 s35, 0x3fe14ced
	s_mov_b32 s24, s18
	s_mov_b32 s28, s16
	s_mov_b32 s34, s20
	v_lshlrev_b64 v[107:108], 4, v[107:108]
	s_mov_b32 s31, 0x3fed1bb4
	s_mov_b32 s30, s14
	v_lshlrev_b64 v[86:87], 4, v[86:87]
	v_lshlrev_b64 v[84:85], 4, v[84:85]
	;; [unrolled: 1-line block ×3, first 2 shown]
	s_waitcnt vmcnt(9) lgkmcnt(9)
	v_mul_f64 v[109:110], v[6:7], v[44:45]
	s_waitcnt vmcnt(8) lgkmcnt(0)
	v_mul_f64 v[111:112], v[42:43], v[72:73]
	v_mul_f64 v[6:7], v[6:7], v[46:47]
	;; [unrolled: 1-line block ×3, first 2 shown]
	s_waitcnt vmcnt(7)
	v_mul_f64 v[113:114], v[14:15], v[64:65]
	s_waitcnt vmcnt(6)
	v_mul_f64 v[115:116], v[34:35], v[60:61]
	;; [unrolled: 2-line block ×4, first 2 shown]
	v_mul_f64 v[30:31], v[30:31], v[70:71]
	v_mul_f64 v[18:19], v[18:19], v[58:59]
	s_waitcnt vmcnt(3)
	v_mul_f64 v[121:122], v[26:27], v[48:49]
	s_waitcnt vmcnt(2)
	v_mul_f64 v[123:124], v[22:23], v[52:53]
	v_mul_f64 v[26:27], v[26:27], v[50:51]
	;; [unrolled: 1-line block ×5, first 2 shown]
	s_waitcnt vmcnt(0)
	v_mul_f64 v[127:128], v[38:39], v[76:77]
	v_mul_f64 v[38:39], v[38:39], v[78:79]
	;; [unrolled: 1-line block ×4, first 2 shown]
	v_fma_f64 v[46:47], v[4:5], v[46:47], v[109:110]
	v_fma_f64 v[203:204], v[40:41], v[74:75], v[111:112]
	v_fma_f64 v[4:5], v[4:5], v[44:45], -v[6:7]
	v_fma_f64 v[74:75], v[40:41], v[72:73], -v[42:43]
	v_fma_f64 v[6:7], v[12:13], v[66:67], v[113:114]
	v_fma_f64 v[44:45], v[32:33], v[62:63], v[115:116]
	;; [unrolled: 1-line block ×4, first 2 shown]
	v_fma_f64 v[28:29], v[28:29], v[68:69], -v[30:31]
	v_fma_f64 v[16:17], v[16:17], v[56:57], -v[18:19]
	v_fma_f64 v[18:19], v[24:25], v[50:51], v[121:122]
	v_fma_f64 v[30:31], v[20:21], v[54:55], v[123:124]
	v_fma_f64 v[24:25], v[24:25], v[48:49], -v[26:27]
	v_fma_f64 v[20:21], v[20:21], v[52:53], -v[22:23]
	;; [unrolled: 1-line block ×4, first 2 shown]
	v_add_co_u32 v48, vcc_lo, v91, v105
	v_fma_f64 v[34:35], v[36:37], v[76:77], -v[38:39]
	v_fma_f64 v[32:33], v[8:9], v[82:83], v[125:126]
	v_fma_f64 v[8:9], v[8:9], v[80:81], -v[10:11]
	v_fma_f64 v[10:11], v[36:37], v[78:79], v[127:128]
	v_add_co_ci_u32_e32 v49, vcc_lo, v92, v106, vcc_lo
	v_add_f64 v[22:23], v[46:47], v[203:204]
	v_add_f64 v[26:27], v[46:47], -v[203:204]
	v_add_f64 v[42:43], v[4:5], -v[74:75]
	v_add_f64 v[52:53], v[4:5], v[74:75]
	v_add_f64 v[46:47], v[2:3], v[46:47]
	;; [unrolled: 1-line block ×5, first 2 shown]
	v_add_f64 v[56:57], v[28:29], -v[16:17]
	v_add_f64 v[66:67], v[18:19], v[30:31]
	v_add_f64 v[70:71], v[18:19], -v[30:31]
	v_add_f64 v[68:69], v[24:25], -v[20:21]
	v_add_f64 v[72:73], v[24:25], v[20:21]
	v_add_f64 v[54:55], v[12:13], -v[14:15]
	v_add_f64 v[80:81], v[62:63], -v[58:59]
	;; [unrolled: 1-line block ×3, first 2 shown]
	v_add_co_u32 v50, vcc_lo, v91, v107
	v_add_f64 v[64:65], v[8:9], -v[34:35]
	v_add_f64 v[60:61], v[32:33], v[10:11]
	v_add_f64 v[76:77], v[32:33], -v[10:11]
	v_add_co_ci_u32_e32 v51, vcc_lo, v92, v108, vcc_lo
	v_mul_f64 v[111:112], v[26:27], s[26:27]
	v_mul_f64 v[117:118], v[22:23], s[0:1]
	;; [unrolled: 1-line block ×3, first 2 shown]
	v_add_f64 v[18:19], v[18:19], v[46:47]
	v_add_f64 v[4:5], v[24:25], v[4:5]
	v_mul_f64 v[133:134], v[38:39], s[6:7]
	v_mul_f64 v[113:114], v[22:23], s[6:7]
	;; [unrolled: 1-line block ×20, first 2 shown]
	v_add_f64 v[18:19], v[32:33], v[18:19]
	v_add_f64 v[4:5], v[8:9], v[4:5]
	v_fma_f64 v[40:41], v[54:55], s[18:19], v[133:134]
	v_mul_f64 v[147:148], v[60:61], s[10:11]
	v_mul_f64 v[60:61], v[60:61], s[0:1]
	;; [unrolled: 1-line block ×8, first 2 shown]
	v_fma_f64 v[187:188], v[52:53], s[10:11], v[111:112]
	v_fma_f64 v[193:194], v[42:43], s[16:17], v[117:118]
	;; [unrolled: 1-line block ×5, first 2 shown]
	v_add_f64 v[78:79], v[8:9], v[34:35]
	v_add_f64 v[82:83], v[28:29], v[16:17]
	buffer_store_dword v40, off, s[36:39], 0 ; 4-byte Folded Spill
	buffer_store_dword v41, off, s[36:39], 0 offset:4 ; 4-byte Folded Spill
	v_add_f64 v[18:19], v[62:63], v[18:19]
	v_add_f64 v[4:5], v[28:29], v[4:5]
	v_fma_f64 v[40:41], v[54:55], s[20:21], v[135:136]
	v_add_f64 v[107:108], v[12:13], v[14:15]
	v_mul_f64 v[46:47], v[70:71], s[16:17]
	v_mul_f64 v[157:158], v[70:71], s[22:23]
	;; [unrolled: 1-line block ×19, first 2 shown]
	v_fma_f64 v[185:186], v[42:43], s[22:23], v[109:110]
	v_fma_f64 v[109:110], v[42:43], s[26:27], v[109:110]
	v_fma_f64 v[111:112], v[52:53], s[10:11], -v[111:112]
	v_fma_f64 v[189:190], v[42:43], s[18:19], v[113:114]
	v_fma_f64 v[191:192], v[52:53], s[6:7], v[115:116]
	;; [unrolled: 1-line block ×3, first 2 shown]
	v_fma_f64 v[115:116], v[52:53], s[6:7], -v[115:116]
	v_fma_f64 v[195:196], v[52:53], s[0:1], v[119:120]
	v_fma_f64 v[119:120], v[52:53], s[0:1], -v[119:120]
	v_fma_f64 v[197:198], v[42:43], s[30:31], v[121:122]
	v_fma_f64 v[199:200], v[52:53], s[4:5], v[123:124]
	v_fma_f64 v[121:122], v[42:43], s[14:15], v[121:122]
	v_fma_f64 v[123:124], v[52:53], s[4:5], -v[123:124]
	v_fma_f64 v[42:43], v[52:53], s[8:9], v[26:27]
	v_fma_f64 v[26:27], v[52:53], s[8:9], -v[26:27]
	v_fma_f64 v[52:53], v[54:55], s[16:17], v[127:128]
	v_fma_f64 v[127:128], v[54:55], s[28:29], v[127:128]
	v_fma_f64 v[205:206], v[54:55], s[14:15], v[131:132]
	v_fma_f64 v[207:208], v[54:55], s[30:31], v[131:132]
	v_fma_f64 v[133:134], v[54:55], s[24:25], v[133:134]
	v_fma_f64 v[135:136], v[54:55], s[34:35], v[135:136]
	v_fma_f64 v[209:210], v[54:55], s[22:23], v[38:39]
	v_fma_f64 v[131:132], v[54:55], s[26:27], v[38:39]
	v_fma_f64 v[54:55], v[56:57], s[14:15], v[125:126]
	v_fma_f64 v[125:126], v[56:57], s[30:31], v[125:126]
	v_fma_f64 v[211:212], v[56:57], s[22:23], v[129:130]
	v_fma_f64 v[129:130], v[56:57], s[26:27], v[129:130]
	v_fma_f64 v[213:214], v[56:57], s[34:35], v[137:138]
	v_fma_f64 v[137:138], v[56:57], s[20:21], v[137:138]
	v_fma_f64 v[215:216], v[56:57], s[28:29], v[139:140]
	v_fma_f64 v[139:140], v[56:57], s[16:17], v[139:140]
	v_fma_f64 v[217:218], v[56:57], s[18:19], v[36:37]
	v_fma_f64 v[38:39], v[56:57], s[24:25], v[36:37]
	v_fma_f64 v[56:57], v[64:65], s[18:19], v[141:142]
	v_fma_f64 v[141:142], v[64:65], s[24:25], v[141:142]
	v_fma_f64 v[219:220], v[64:65], s[34:35], v[143:144]
	v_fma_f64 v[143:144], v[64:65], s[20:21], v[143:144]
	v_fma_f64 v[221:222], v[64:65], s[14:15], v[145:146]
	v_fma_f64 v[145:146], v[64:65], s[30:31], v[145:146]
	v_fma_f64 v[223:224], v[64:65], s[26:27], v[147:148]
	v_fma_f64 v[147:148], v[64:65], s[22:23], v[147:148]
	v_fma_f64 v[225:226], v[64:65], s[16:17], v[60:61]
	v_fma_f64 v[60:61], v[64:65], s[28:29], v[60:61]
	v_fma_f64 v[64:65], v[68:69], s[20:21], v[149:150]
	v_fma_f64 v[149:150], v[68:69], s[34:35], v[149:150]
	v_fma_f64 v[227:228], v[68:69], s[28:29], v[151:152]
	v_fma_f64 v[151:152], v[68:69], s[16:17], v[151:152]
	v_fma_f64 v[8:9], v[68:69], s[26:27], v[153:154]
	v_fma_f64 v[32:33], v[68:69], s[22:23], v[153:154]
	v_fma_f64 v[153:154], v[68:69], s[18:19], v[155:156]
	v_fma_f64 v[155:156], v[68:69], s[24:25], v[155:156]
	v_fma_f64 v[229:230], v[68:69], s[30:31], v[66:67]
	v_fma_f64 v[66:67], v[68:69], s[14:15], v[66:67]
	v_fma_f64 v[68:69], v[72:73], s[8:9], v[24:25]
	v_add_f64 v[6:7], v[6:7], v[18:19]
	v_add_f64 v[4:5], v[12:13], v[4:5]
	;; [unrolled: 1-line block ×5, first 2 shown]
	buffer_store_dword v40, off, s[36:39], 0 offset:8 ; 4-byte Folded Spill
	buffer_store_dword v41, off, s[36:39], 0 offset:12 ; 4-byte Folded Spill
	v_fma_f64 v[24:25], v[72:73], s[8:9], -v[24:25]
	v_fma_f64 v[231:232], v[72:73], s[0:1], v[46:47]
	v_fma_f64 v[46:47], v[72:73], s[0:1], -v[46:47]
	v_fma_f64 v[233:234], v[72:73], s[10:11], v[157:158]
	;; [unrolled: 2-line block ×19, first 2 shown]
	v_fma_f64 v[105:106], v[107:108], s[10:11], -v[105:106]
	v_add_f64 v[12:13], v[2:3], v[185:186]
	v_add_f64 v[107:108], v[2:3], v[109:110]
	;; [unrolled: 1-line block ×81, first 2 shown]
	s_clause 0x1
	buffer_load_dword v32, off, s[36:39], 0
	buffer_load_dword v33, off, s[36:39], 0 offset:4
	v_add_f64 v[26:27], v[131:132], v[38:39]
	s_clause 0x1
	buffer_load_dword v38, off, s[36:39], 0 offset:8
	buffer_load_dword v39, off, s[36:39], 0 offset:12
	v_add_f64 v[58:59], v[139:140], v[70:71]
	v_add_f64 v[56:57], v[129:130], v[68:69]
	;; [unrolled: 1-line block ×18, first 2 shown]
	v_add_co_u32 v44, vcc_lo, v91, v86
	v_add_co_ci_u32_e32 v45, vcc_lo, v92, v87, vcc_lo
	v_add_f64 v[22:23], v[135:136], v[58:59]
	v_add_f64 v[14:15], v[207:208], v[56:57]
	v_add_co_u32 v46, vcc_lo, v91, v84
	v_add_f64 v[36:37], v[36:37], v[70:71]
	v_add_f64 v[42:43], v[209:210], v[72:73]
	v_add_co_ci_u32_e32 v47, vcc_lo, v92, v85, vcc_lo
	v_add_co_u32 v52, vcc_lo, v91, v88
	v_add_co_ci_u32_e32 v53, vcc_lo, v92, v89, vcc_lo
	s_waitcnt vmcnt(2)
	v_add_f64 v[34:35], v[32:33], v[64:65]
	v_add_f64 v[32:33], v[253:254], v[66:67]
	s_waitcnt vmcnt(0)
	v_add_f64 v[38:39], v[38:39], v[68:69]
	global_store_dwordx4 v[93:94], v[28:31], off
	global_store_dwordx4 v[95:96], v[24:27], off
	;; [unrolled: 1-line block ×11, first 2 shown]
	s_endpgm
	.section	.rodata,"a",@progbits
	.p2align	6, 0x0
	.amdhsa_kernel fft_rtc_fwd_len220_factors_10_2_11_wgs_110_tpt_22_dp_ip_CI_sbrr_dirReg
		.amdhsa_group_segment_fixed_size 0
		.amdhsa_private_segment_fixed_size 20
		.amdhsa_kernarg_size 88
		.amdhsa_user_sgpr_count 6
		.amdhsa_user_sgpr_private_segment_buffer 1
		.amdhsa_user_sgpr_dispatch_ptr 0
		.amdhsa_user_sgpr_queue_ptr 0
		.amdhsa_user_sgpr_kernarg_segment_ptr 1
		.amdhsa_user_sgpr_dispatch_id 0
		.amdhsa_user_sgpr_flat_scratch_init 0
		.amdhsa_user_sgpr_private_segment_size 0
		.amdhsa_wavefront_size32 1
		.amdhsa_uses_dynamic_stack 0
		.amdhsa_system_sgpr_private_segment_wavefront_offset 1
		.amdhsa_system_sgpr_workgroup_id_x 1
		.amdhsa_system_sgpr_workgroup_id_y 0
		.amdhsa_system_sgpr_workgroup_id_z 0
		.amdhsa_system_sgpr_workgroup_info 0
		.amdhsa_system_vgpr_workitem_id 0
		.amdhsa_next_free_vgpr 255
		.amdhsa_next_free_sgpr 40
		.amdhsa_reserve_vcc 1
		.amdhsa_reserve_flat_scratch 0
		.amdhsa_float_round_mode_32 0
		.amdhsa_float_round_mode_16_64 0
		.amdhsa_float_denorm_mode_32 3
		.amdhsa_float_denorm_mode_16_64 3
		.amdhsa_dx10_clamp 1
		.amdhsa_ieee_mode 1
		.amdhsa_fp16_overflow 0
		.amdhsa_workgroup_processor_mode 1
		.amdhsa_memory_ordered 1
		.amdhsa_forward_progress 0
		.amdhsa_shared_vgpr_count 0
		.amdhsa_exception_fp_ieee_invalid_op 0
		.amdhsa_exception_fp_denorm_src 0
		.amdhsa_exception_fp_ieee_div_zero 0
		.amdhsa_exception_fp_ieee_overflow 0
		.amdhsa_exception_fp_ieee_underflow 0
		.amdhsa_exception_fp_ieee_inexact 0
		.amdhsa_exception_int_div_zero 0
	.end_amdhsa_kernel
	.text
.Lfunc_end0:
	.size	fft_rtc_fwd_len220_factors_10_2_11_wgs_110_tpt_22_dp_ip_CI_sbrr_dirReg, .Lfunc_end0-fft_rtc_fwd_len220_factors_10_2_11_wgs_110_tpt_22_dp_ip_CI_sbrr_dirReg
                                        ; -- End function
	.section	.AMDGPU.csdata,"",@progbits
; Kernel info:
; codeLenInByte = 8164
; NumSgprs: 42
; NumVgprs: 255
; ScratchSize: 20
; MemoryBound: 1
; FloatMode: 240
; IeeeMode: 1
; LDSByteSize: 0 bytes/workgroup (compile time only)
; SGPRBlocks: 5
; VGPRBlocks: 31
; NumSGPRsForWavesPerEU: 42
; NumVGPRsForWavesPerEU: 255
; Occupancy: 4
; WaveLimiterHint : 1
; COMPUTE_PGM_RSRC2:SCRATCH_EN: 1
; COMPUTE_PGM_RSRC2:USER_SGPR: 6
; COMPUTE_PGM_RSRC2:TRAP_HANDLER: 0
; COMPUTE_PGM_RSRC2:TGID_X_EN: 1
; COMPUTE_PGM_RSRC2:TGID_Y_EN: 0
; COMPUTE_PGM_RSRC2:TGID_Z_EN: 0
; COMPUTE_PGM_RSRC2:TIDIG_COMP_CNT: 0
	.text
	.p2alignl 6, 3214868480
	.fill 48, 4, 3214868480
	.type	__hip_cuid_b97846bff1c24372,@object ; @__hip_cuid_b97846bff1c24372
	.section	.bss,"aw",@nobits
	.globl	__hip_cuid_b97846bff1c24372
__hip_cuid_b97846bff1c24372:
	.byte	0                               ; 0x0
	.size	__hip_cuid_b97846bff1c24372, 1

	.ident	"AMD clang version 19.0.0git (https://github.com/RadeonOpenCompute/llvm-project roc-6.4.0 25133 c7fe45cf4b819c5991fe208aaa96edf142730f1d)"
	.section	".note.GNU-stack","",@progbits
	.addrsig
	.addrsig_sym __hip_cuid_b97846bff1c24372
	.amdgpu_metadata
---
amdhsa.kernels:
  - .args:
      - .actual_access:  read_only
        .address_space:  global
        .offset:         0
        .size:           8
        .value_kind:     global_buffer
      - .offset:         8
        .size:           8
        .value_kind:     by_value
      - .actual_access:  read_only
        .address_space:  global
        .offset:         16
        .size:           8
        .value_kind:     global_buffer
      - .actual_access:  read_only
        .address_space:  global
        .offset:         24
        .size:           8
        .value_kind:     global_buffer
      - .offset:         32
        .size:           8
        .value_kind:     by_value
      - .actual_access:  read_only
        .address_space:  global
        .offset:         40
        .size:           8
        .value_kind:     global_buffer
      - .actual_access:  read_only
        .address_space:  global
        .offset:         48
        .size:           8
        .value_kind:     global_buffer
      - .offset:         56
        .size:           4
        .value_kind:     by_value
      - .actual_access:  read_only
        .address_space:  global
        .offset:         64
        .size:           8
        .value_kind:     global_buffer
      - .actual_access:  read_only
        .address_space:  global
        .offset:         72
        .size:           8
        .value_kind:     global_buffer
      - .address_space:  global
        .offset:         80
        .size:           8
        .value_kind:     global_buffer
    .group_segment_fixed_size: 0
    .kernarg_segment_align: 8
    .kernarg_segment_size: 88
    .language:       OpenCL C
    .language_version:
      - 2
      - 0
    .max_flat_workgroup_size: 110
    .name:           fft_rtc_fwd_len220_factors_10_2_11_wgs_110_tpt_22_dp_ip_CI_sbrr_dirReg
    .private_segment_fixed_size: 20
    .sgpr_count:     42
    .sgpr_spill_count: 0
    .symbol:         fft_rtc_fwd_len220_factors_10_2_11_wgs_110_tpt_22_dp_ip_CI_sbrr_dirReg.kd
    .uniform_work_group_size: 1
    .uses_dynamic_stack: false
    .vgpr_count:     255
    .vgpr_spill_count: 4
    .wavefront_size: 32
    .workgroup_processor_mode: 1
amdhsa.target:   amdgcn-amd-amdhsa--gfx1030
amdhsa.version:
  - 1
  - 2
...

	.end_amdgpu_metadata
